;; amdgpu-corpus repo=ROCm/rocFFT kind=compiled arch=gfx1030 opt=O3
	.text
	.amdgcn_target "amdgcn-amd-amdhsa--gfx1030"
	.amdhsa_code_object_version 6
	.protected	fft_rtc_back_len1296_factors_6_6_6_6_wgs_108_tpt_108_halfLds_dp_ip_CI_unitstride_sbrr_C2R_dirReg ; -- Begin function fft_rtc_back_len1296_factors_6_6_6_6_wgs_108_tpt_108_halfLds_dp_ip_CI_unitstride_sbrr_C2R_dirReg
	.globl	fft_rtc_back_len1296_factors_6_6_6_6_wgs_108_tpt_108_halfLds_dp_ip_CI_unitstride_sbrr_C2R_dirReg
	.p2align	8
	.type	fft_rtc_back_len1296_factors_6_6_6_6_wgs_108_tpt_108_halfLds_dp_ip_CI_unitstride_sbrr_C2R_dirReg,@function
fft_rtc_back_len1296_factors_6_6_6_6_wgs_108_tpt_108_halfLds_dp_ip_CI_unitstride_sbrr_C2R_dirReg: ; @fft_rtc_back_len1296_factors_6_6_6_6_wgs_108_tpt_108_halfLds_dp_ip_CI_unitstride_sbrr_C2R_dirReg
; %bb.0:
	s_clause 0x2
	s_load_dwordx4 s[8:11], s[4:5], 0x0
	s_load_dwordx2 s[2:3], s[4:5], 0x50
	s_load_dwordx2 s[12:13], s[4:5], 0x18
	v_mul_u32_u24_e32 v1, 0x25f, v0
	v_mov_b32_e32 v3, 0
	v_add_nc_u32_sdwa v5, s6, v1 dst_sel:DWORD dst_unused:UNUSED_PAD src0_sel:DWORD src1_sel:WORD_1
	v_mov_b32_e32 v1, 0
	v_mov_b32_e32 v6, v3
	v_mov_b32_e32 v2, 0
	s_waitcnt lgkmcnt(0)
	v_cmp_lt_u64_e64 s0, s[10:11], 2
	s_and_b32 vcc_lo, exec_lo, s0
	s_cbranch_vccnz .LBB0_8
; %bb.1:
	s_load_dwordx2 s[0:1], s[4:5], 0x10
	v_mov_b32_e32 v1, 0
	s_add_u32 s6, s12, 8
	v_mov_b32_e32 v2, 0
	s_addc_u32 s7, s13, 0
	s_mov_b64 s[16:17], 1
	s_waitcnt lgkmcnt(0)
	s_add_u32 s14, s0, 8
	s_addc_u32 s15, s1, 0
.LBB0_2:                                ; =>This Inner Loop Header: Depth=1
	s_load_dwordx2 s[18:19], s[14:15], 0x0
                                        ; implicit-def: $vgpr7_vgpr8
	s_mov_b32 s0, exec_lo
	s_waitcnt lgkmcnt(0)
	v_or_b32_e32 v4, s19, v6
	v_cmpx_ne_u64_e32 0, v[3:4]
	s_xor_b32 s1, exec_lo, s0
	s_cbranch_execz .LBB0_4
; %bb.3:                                ;   in Loop: Header=BB0_2 Depth=1
	v_cvt_f32_u32_e32 v4, s18
	v_cvt_f32_u32_e32 v7, s19
	s_sub_u32 s0, 0, s18
	s_subb_u32 s20, 0, s19
	v_fmac_f32_e32 v4, 0x4f800000, v7
	v_rcp_f32_e32 v4, v4
	v_mul_f32_e32 v4, 0x5f7ffffc, v4
	v_mul_f32_e32 v7, 0x2f800000, v4
	v_trunc_f32_e32 v7, v7
	v_fmac_f32_e32 v4, 0xcf800000, v7
	v_cvt_u32_f32_e32 v7, v7
	v_cvt_u32_f32_e32 v4, v4
	v_mul_lo_u32 v8, s0, v7
	v_mul_hi_u32 v9, s0, v4
	v_mul_lo_u32 v10, s20, v4
	v_add_nc_u32_e32 v8, v9, v8
	v_mul_lo_u32 v9, s0, v4
	v_add_nc_u32_e32 v8, v8, v10
	v_mul_hi_u32 v10, v4, v9
	v_mul_lo_u32 v11, v4, v8
	v_mul_hi_u32 v12, v4, v8
	v_mul_hi_u32 v13, v7, v9
	v_mul_lo_u32 v9, v7, v9
	v_mul_hi_u32 v14, v7, v8
	v_mul_lo_u32 v8, v7, v8
	v_add_co_u32 v10, vcc_lo, v10, v11
	v_add_co_ci_u32_e32 v11, vcc_lo, 0, v12, vcc_lo
	v_add_co_u32 v9, vcc_lo, v10, v9
	v_add_co_ci_u32_e32 v9, vcc_lo, v11, v13, vcc_lo
	v_add_co_ci_u32_e32 v10, vcc_lo, 0, v14, vcc_lo
	v_add_co_u32 v8, vcc_lo, v9, v8
	v_add_co_ci_u32_e32 v9, vcc_lo, 0, v10, vcc_lo
	v_add_co_u32 v4, vcc_lo, v4, v8
	v_add_co_ci_u32_e32 v7, vcc_lo, v7, v9, vcc_lo
	v_mul_hi_u32 v8, s0, v4
	v_mul_lo_u32 v10, s20, v4
	v_mul_lo_u32 v9, s0, v7
	v_add_nc_u32_e32 v8, v8, v9
	v_mul_lo_u32 v9, s0, v4
	v_add_nc_u32_e32 v8, v8, v10
	v_mul_hi_u32 v10, v4, v9
	v_mul_lo_u32 v11, v4, v8
	v_mul_hi_u32 v12, v4, v8
	v_mul_hi_u32 v13, v7, v9
	v_mul_lo_u32 v9, v7, v9
	v_mul_hi_u32 v14, v7, v8
	v_mul_lo_u32 v8, v7, v8
	v_add_co_u32 v10, vcc_lo, v10, v11
	v_add_co_ci_u32_e32 v11, vcc_lo, 0, v12, vcc_lo
	v_add_co_u32 v9, vcc_lo, v10, v9
	v_add_co_ci_u32_e32 v9, vcc_lo, v11, v13, vcc_lo
	v_add_co_ci_u32_e32 v10, vcc_lo, 0, v14, vcc_lo
	v_add_co_u32 v8, vcc_lo, v9, v8
	v_add_co_ci_u32_e32 v9, vcc_lo, 0, v10, vcc_lo
	v_add_co_u32 v4, vcc_lo, v4, v8
	v_add_co_ci_u32_e32 v11, vcc_lo, v7, v9, vcc_lo
	v_mul_hi_u32 v13, v5, v4
	v_mad_u64_u32 v[9:10], null, v6, v4, 0
	v_mad_u64_u32 v[7:8], null, v5, v11, 0
	;; [unrolled: 1-line block ×3, first 2 shown]
	v_add_co_u32 v4, vcc_lo, v13, v7
	v_add_co_ci_u32_e32 v7, vcc_lo, 0, v8, vcc_lo
	v_add_co_u32 v4, vcc_lo, v4, v9
	v_add_co_ci_u32_e32 v4, vcc_lo, v7, v10, vcc_lo
	v_add_co_ci_u32_e32 v7, vcc_lo, 0, v12, vcc_lo
	v_add_co_u32 v4, vcc_lo, v4, v11
	v_add_co_ci_u32_e32 v9, vcc_lo, 0, v7, vcc_lo
	v_mul_lo_u32 v10, s19, v4
	v_mad_u64_u32 v[7:8], null, s18, v4, 0
	v_mul_lo_u32 v11, s18, v9
	v_sub_co_u32 v7, vcc_lo, v5, v7
	v_add3_u32 v8, v8, v11, v10
	v_sub_nc_u32_e32 v10, v6, v8
	v_subrev_co_ci_u32_e64 v10, s0, s19, v10, vcc_lo
	v_add_co_u32 v11, s0, v4, 2
	v_add_co_ci_u32_e64 v12, s0, 0, v9, s0
	v_sub_co_u32 v13, s0, v7, s18
	v_sub_co_ci_u32_e32 v8, vcc_lo, v6, v8, vcc_lo
	v_subrev_co_ci_u32_e64 v10, s0, 0, v10, s0
	v_cmp_le_u32_e32 vcc_lo, s18, v13
	v_cmp_eq_u32_e64 s0, s19, v8
	v_cndmask_b32_e64 v13, 0, -1, vcc_lo
	v_cmp_le_u32_e32 vcc_lo, s19, v10
	v_cndmask_b32_e64 v14, 0, -1, vcc_lo
	v_cmp_le_u32_e32 vcc_lo, s18, v7
	;; [unrolled: 2-line block ×3, first 2 shown]
	v_cndmask_b32_e64 v15, 0, -1, vcc_lo
	v_cmp_eq_u32_e32 vcc_lo, s19, v10
	v_cndmask_b32_e64 v7, v15, v7, s0
	v_cndmask_b32_e32 v10, v14, v13, vcc_lo
	v_add_co_u32 v13, vcc_lo, v4, 1
	v_add_co_ci_u32_e32 v14, vcc_lo, 0, v9, vcc_lo
	v_cmp_ne_u32_e32 vcc_lo, 0, v10
	v_cndmask_b32_e32 v8, v14, v12, vcc_lo
	v_cndmask_b32_e32 v10, v13, v11, vcc_lo
	v_cmp_ne_u32_e32 vcc_lo, 0, v7
	v_cndmask_b32_e32 v8, v9, v8, vcc_lo
	v_cndmask_b32_e32 v7, v4, v10, vcc_lo
.LBB0_4:                                ;   in Loop: Header=BB0_2 Depth=1
	s_andn2_saveexec_b32 s0, s1
	s_cbranch_execz .LBB0_6
; %bb.5:                                ;   in Loop: Header=BB0_2 Depth=1
	v_cvt_f32_u32_e32 v4, s18
	s_sub_i32 s1, 0, s18
	v_rcp_iflag_f32_e32 v4, v4
	v_mul_f32_e32 v4, 0x4f7ffffe, v4
	v_cvt_u32_f32_e32 v4, v4
	v_mul_lo_u32 v7, s1, v4
	v_mul_hi_u32 v7, v4, v7
	v_add_nc_u32_e32 v4, v4, v7
	v_mul_hi_u32 v4, v5, v4
	v_mul_lo_u32 v7, v4, s18
	v_add_nc_u32_e32 v8, 1, v4
	v_sub_nc_u32_e32 v7, v5, v7
	v_subrev_nc_u32_e32 v9, s18, v7
	v_cmp_le_u32_e32 vcc_lo, s18, v7
	v_cndmask_b32_e32 v7, v7, v9, vcc_lo
	v_cndmask_b32_e32 v4, v4, v8, vcc_lo
	v_cmp_le_u32_e32 vcc_lo, s18, v7
	v_add_nc_u32_e32 v8, 1, v4
	v_cndmask_b32_e32 v7, v4, v8, vcc_lo
	v_mov_b32_e32 v8, v3
.LBB0_6:                                ;   in Loop: Header=BB0_2 Depth=1
	s_or_b32 exec_lo, exec_lo, s0
	s_load_dwordx2 s[0:1], s[6:7], 0x0
	v_mul_lo_u32 v4, v8, s18
	v_mul_lo_u32 v11, v7, s19
	v_mad_u64_u32 v[9:10], null, v7, s18, 0
	s_add_u32 s16, s16, 1
	s_addc_u32 s17, s17, 0
	s_add_u32 s6, s6, 8
	s_addc_u32 s7, s7, 0
	;; [unrolled: 2-line block ×3, first 2 shown]
	v_add3_u32 v4, v10, v11, v4
	v_sub_co_u32 v5, vcc_lo, v5, v9
	v_sub_co_ci_u32_e32 v4, vcc_lo, v6, v4, vcc_lo
	s_waitcnt lgkmcnt(0)
	v_mul_lo_u32 v6, s1, v5
	v_mul_lo_u32 v4, s0, v4
	v_mad_u64_u32 v[1:2], null, s0, v5, v[1:2]
	v_cmp_ge_u64_e64 s0, s[16:17], s[10:11]
	s_and_b32 vcc_lo, exec_lo, s0
	v_add3_u32 v2, v6, v2, v4
	s_cbranch_vccnz .LBB0_9
; %bb.7:                                ;   in Loop: Header=BB0_2 Depth=1
	v_mov_b32_e32 v5, v7
	v_mov_b32_e32 v6, v8
	s_branch .LBB0_2
.LBB0_8:
	v_mov_b32_e32 v8, v6
	v_mov_b32_e32 v7, v5
.LBB0_9:
	s_lshl_b64 s[0:1], s[10:11], 3
	v_mul_hi_u32 v5, 0x25ed098, v0
	s_add_u32 s0, s12, s0
	s_addc_u32 s1, s13, s1
	s_load_dwordx2 s[0:1], s[0:1], 0x0
	s_load_dwordx2 s[4:5], s[4:5], 0x20
	s_waitcnt lgkmcnt(0)
	v_mul_lo_u32 v3, s0, v8
	v_mul_lo_u32 v4, s1, v7
	v_mad_u64_u32 v[1:2], null, s0, v7, v[1:2]
	v_cmp_gt_u64_e32 vcc_lo, s[4:5], v[7:8]
	v_add3_u32 v2, v4, v2, v3
	v_mul_u32_u24_e32 v3, 0x6c, v5
	v_lshlrev_b64 v[6:7], 4, v[1:2]
	v_sub_nc_u32_e32 v4, v0, v3
	s_and_saveexec_b32 s1, vcc_lo
	s_cbranch_execz .LBB0_13
; %bb.10:
	v_mov_b32_e32 v5, 0
	v_add_co_u32 v0, s0, s2, v6
	v_add_co_ci_u32_e64 v1, s0, s3, v7, s0
	v_lshlrev_b64 v[2:3], 4, v[4:5]
	s_mov_b32 s4, exec_lo
	v_add_co_u32 v2, s0, v0, v2
	v_add_co_ci_u32_e64 v3, s0, v1, v3, s0
	v_add_co_u32 v16, s0, 0x800, v2
	v_add_co_ci_u32_e64 v17, s0, 0, v3, s0
	;; [unrolled: 2-line block ×9, first 2 shown]
	s_clause 0x5
	global_load_dwordx4 v[8:11], v[2:3], off
	global_load_dwordx4 v[12:15], v[2:3], off offset:1728
	global_load_dwordx4 v[16:19], v[16:17], off offset:1408
	;; [unrolled: 1-line block ×5, first 2 shown]
	v_add_co_u32 v2, s0, 0x4800, v2
	v_add_co_ci_u32_e64 v3, s0, 0, v3, s0
	s_clause 0x5
	global_load_dwordx4 v[32:35], v[36:37], off offset:128
	global_load_dwordx4 v[36:39], v[36:37], off offset:1856
	;; [unrolled: 1-line block ×6, first 2 shown]
	v_lshl_add_u32 v2, v4, 4, 0
	s_waitcnt vmcnt(11)
	ds_write_b128 v2, v[8:11]
	s_waitcnt vmcnt(10)
	ds_write_b128 v2, v[12:15] offset:1728
	s_waitcnt vmcnt(9)
	ds_write_b128 v2, v[16:19] offset:3456
	;; [unrolled: 2-line block ×11, first 2 shown]
	v_cmpx_eq_u32_e32 0x6b, v4
	s_cbranch_execz .LBB0_12
; %bb.11:
	v_add_co_u32 v0, s0, 0x5000, v0
	v_add_co_ci_u32_e64 v1, s0, 0, v1, s0
	v_mov_b32_e32 v4, 0x6b
	global_load_dwordx4 v[0:3], v[0:1], off offset:256
	s_waitcnt vmcnt(0)
	ds_write_b128 v5, v[0:3] offset:20736
.LBB0_12:
	s_or_b32 exec_lo, exec_lo, s4
.LBB0_13:
	s_or_b32 exec_lo, exec_lo, s1
	v_lshlrev_b32_e32 v0, 4, v4
	s_waitcnt lgkmcnt(0)
	s_barrier
	buffer_gl0_inv
	s_add_u32 s1, s8, 0x50a0
	v_add_nc_u32_e32 v20, 0, v0
	v_sub_nc_u32_e32 v14, 0, v0
	s_addc_u32 s4, s9, 0
	s_mov_b32 s5, exec_lo
                                        ; implicit-def: $vgpr8_vgpr9
	ds_read_b64 v[10:11], v20
	ds_read_b64 v[12:13], v14 offset:20736
	s_waitcnt lgkmcnt(0)
	v_add_f64 v[0:1], v[10:11], v[12:13]
	v_add_f64 v[2:3], v[10:11], -v[12:13]
	v_cmpx_ne_u32_e32 0, v4
	s_xor_b32 s5, exec_lo, s5
	s_cbranch_execz .LBB0_15
; %bb.14:
	v_mov_b32_e32 v5, 0
	v_add_f64 v[8:9], v[10:11], v[12:13]
	v_add_f64 v[21:22], v[10:11], -v[12:13]
	v_lshlrev_b64 v[0:1], 4, v[4:5]
	v_add_co_u32 v0, s0, s1, v0
	v_add_co_ci_u32_e64 v1, s0, s4, v1, s0
	global_load_dwordx4 v[15:18], v[0:1], off
	ds_read_b64 v[0:1], v14 offset:20744
	ds_read_b64 v[2:3], v20 offset:8
	s_waitcnt lgkmcnt(0)
	v_add_f64 v[10:11], v[0:1], v[2:3]
	v_add_f64 v[0:1], v[2:3], -v[0:1]
	s_waitcnt vmcnt(0)
	v_fma_f64 v[2:3], v[21:22], v[17:18], v[8:9]
	v_fma_f64 v[8:9], -v[21:22], v[17:18], v[8:9]
	v_fma_f64 v[12:13], v[10:11], v[17:18], -v[0:1]
	v_fma_f64 v[17:18], v[10:11], v[17:18], v[0:1]
	v_fma_f64 v[0:1], -v[10:11], v[15:16], v[2:3]
	v_fma_f64 v[10:11], v[10:11], v[15:16], v[8:9]
	v_fma_f64 v[12:13], v[21:22], v[15:16], v[12:13]
	v_mov_b32_e32 v9, v5
	v_fma_f64 v[2:3], v[21:22], v[15:16], v[17:18]
	v_mov_b32_e32 v8, v4
	ds_write_b128 v14, v[10:13] offset:20736
.LBB0_15:
	s_andn2_saveexec_b32 s0, s5
	s_cbranch_execz .LBB0_17
; %bb.16:
	v_mov_b32_e32 v5, 0
	ds_read_b128 v[8:11], v5 offset:10368
	s_waitcnt lgkmcnt(0)
	v_add_f64 v[15:16], v[8:9], v[8:9]
	v_mul_f64 v[17:18], v[10:11], -2.0
	v_mov_b32_e32 v8, 0
	v_mov_b32_e32 v9, 0
	ds_write_b128 v5, v[15:18] offset:10368
.LBB0_17:
	s_or_b32 exec_lo, exec_lo, s0
	v_lshlrev_b64 v[8:9], 4, v[8:9]
	ds_write_b128 v20, v[0:3]
	s_mov_b32 s7, 0x3febb67a
	v_mov_b32_e32 v5, 5
	v_add_co_u32 v33, s0, s1, v8
	v_add_co_ci_u32_e64 v34, s0, s4, v9, s0
	s_mov_b32 s4, 0xe8584caa
	v_add_co_u32 v12, s0, 0x800, v33
	global_load_dwordx4 v[8:11], v[33:34], off offset:1728
	v_add_co_ci_u32_e64 v13, s0, 0, v34, s0
	s_mov_b32 s5, 0xbfebb67a
	s_mov_b32 s6, s4
	global_load_dwordx4 v[15:18], v[12:13], off offset:1408
	v_add_co_u32 v12, s0, 0x1000, v33
	v_add_co_ci_u32_e64 v13, s0, 0, v34, s0
	global_load_dwordx4 v[21:24], v[12:13], off offset:1088
	v_add_co_u32 v12, s0, 0x1800, v33
	v_add_co_ci_u32_e64 v13, s0, 0, v34, s0
	ds_read_b128 v[0:3], v20 offset:1728
	ds_read_b128 v[25:28], v14 offset:19008
	global_load_dwordx4 v[29:32], v[12:13], off offset:768
	s_waitcnt lgkmcnt(0)
	v_add_f64 v[12:13], v[0:1], v[25:26]
	v_add_f64 v[35:36], v[27:28], v[2:3]
	v_add_f64 v[25:26], v[0:1], -v[25:26]
	v_add_f64 v[0:1], v[2:3], -v[27:28]
	s_waitcnt vmcnt(3)
	v_fma_f64 v[2:3], v[25:26], v[10:11], v[12:13]
	v_fma_f64 v[27:28], v[35:36], v[10:11], v[0:1]
	v_fma_f64 v[12:13], -v[25:26], v[10:11], v[12:13]
	v_fma_f64 v[37:38], v[35:36], v[10:11], -v[0:1]
	v_fma_f64 v[0:1], -v[35:36], v[8:9], v[2:3]
	v_fma_f64 v[2:3], v[25:26], v[8:9], v[27:28]
	v_fma_f64 v[10:11], v[35:36], v[8:9], v[12:13]
	;; [unrolled: 1-line block ×3, first 2 shown]
	v_add_co_u32 v25, s0, 0x2000, v33
	v_add_co_ci_u32_e64 v26, s0, 0, v34, s0
	ds_write_b128 v20, v[0:3] offset:1728
	ds_write_b128 v14, v[10:13] offset:19008
	ds_read_b128 v[0:3], v20 offset:3456
	ds_read_b128 v[8:11], v14 offset:17280
	global_load_dwordx4 v[25:28], v[25:26], off offset:448
	s_waitcnt lgkmcnt(0)
	v_add_f64 v[12:13], v[0:1], v[8:9]
	v_add_f64 v[33:34], v[10:11], v[2:3]
	v_add_f64 v[35:36], v[0:1], -v[8:9]
	v_add_f64 v[0:1], v[2:3], -v[10:11]
	s_waitcnt vmcnt(3)
	v_fma_f64 v[2:3], v[35:36], v[17:18], v[12:13]
	v_fma_f64 v[8:9], v[33:34], v[17:18], v[0:1]
	v_fma_f64 v[10:11], -v[35:36], v[17:18], v[12:13]
	v_fma_f64 v[12:13], v[33:34], v[17:18], -v[0:1]
	v_fma_f64 v[0:1], -v[33:34], v[15:16], v[2:3]
	v_fma_f64 v[2:3], v[35:36], v[15:16], v[8:9]
	v_fma_f64 v[8:9], v[33:34], v[15:16], v[10:11]
	;; [unrolled: 1-line block ×3, first 2 shown]
	ds_write_b128 v20, v[0:3] offset:3456
	ds_write_b128 v14, v[8:11] offset:17280
	ds_read_b128 v[0:3], v20 offset:5184
	ds_read_b128 v[8:11], v14 offset:15552
	s_waitcnt lgkmcnt(0)
	v_add_f64 v[12:13], v[0:1], v[8:9]
	v_add_f64 v[15:16], v[10:11], v[2:3]
	v_add_f64 v[17:18], v[0:1], -v[8:9]
	v_add_f64 v[0:1], v[2:3], -v[10:11]
	s_waitcnt vmcnt(2)
	v_fma_f64 v[2:3], v[17:18], v[23:24], v[12:13]
	v_fma_f64 v[8:9], v[15:16], v[23:24], v[0:1]
	v_fma_f64 v[10:11], -v[17:18], v[23:24], v[12:13]
	v_fma_f64 v[12:13], v[15:16], v[23:24], -v[0:1]
	v_fma_f64 v[0:1], -v[15:16], v[21:22], v[2:3]
	v_fma_f64 v[2:3], v[17:18], v[21:22], v[8:9]
	v_fma_f64 v[8:9], v[15:16], v[21:22], v[10:11]
	;; [unrolled: 1-line block ×3, first 2 shown]
	v_and_b32_e32 v21, 0xff, v4
	ds_write_b128 v20, v[0:3] offset:5184
	ds_write_b128 v14, v[8:11] offset:15552
	ds_read_b128 v[0:3], v20 offset:6912
	ds_read_b128 v[8:11], v14 offset:13824
	s_waitcnt lgkmcnt(0)
	v_add_f64 v[12:13], v[0:1], v[8:9]
	v_add_f64 v[15:16], v[10:11], v[2:3]
	v_add_f64 v[17:18], v[0:1], -v[8:9]
	v_add_f64 v[0:1], v[2:3], -v[10:11]
	s_waitcnt vmcnt(1)
	v_fma_f64 v[2:3], v[17:18], v[31:32], v[12:13]
	v_fma_f64 v[8:9], v[15:16], v[31:32], v[0:1]
	v_fma_f64 v[10:11], -v[17:18], v[31:32], v[12:13]
	v_fma_f64 v[12:13], v[15:16], v[31:32], -v[0:1]
	v_fma_f64 v[0:1], -v[15:16], v[29:30], v[2:3]
	v_fma_f64 v[2:3], v[17:18], v[29:30], v[8:9]
	v_fma_f64 v[8:9], v[15:16], v[29:30], v[10:11]
	;; [unrolled: 1-line block ×3, first 2 shown]
	ds_write_b128 v20, v[0:3] offset:6912
	ds_write_b128 v14, v[8:11] offset:13824
	ds_read_b128 v[0:3], v20 offset:8640
	ds_read_b128 v[8:11], v14 offset:12096
	s_waitcnt lgkmcnt(0)
	v_add_f64 v[12:13], v[0:1], v[8:9]
	v_add_f64 v[15:16], v[10:11], v[2:3]
	v_add_f64 v[17:18], v[0:1], -v[8:9]
	v_add_f64 v[0:1], v[2:3], -v[10:11]
	s_waitcnt vmcnt(0)
	v_fma_f64 v[2:3], v[17:18], v[27:28], v[12:13]
	v_fma_f64 v[8:9], v[15:16], v[27:28], v[0:1]
	v_fma_f64 v[10:11], -v[17:18], v[27:28], v[12:13]
	v_fma_f64 v[12:13], v[15:16], v[27:28], -v[0:1]
	v_fma_f64 v[0:1], -v[15:16], v[25:26], v[2:3]
	v_fma_f64 v[2:3], v[17:18], v[25:26], v[8:9]
	v_fma_f64 v[8:9], v[15:16], v[25:26], v[10:11]
	;; [unrolled: 1-line block ×3, first 2 shown]
	ds_write_b128 v20, v[0:3] offset:8640
	ds_write_b128 v14, v[8:11] offset:12096
	s_waitcnt lgkmcnt(0)
	s_barrier
	buffer_gl0_inv
	s_barrier
	buffer_gl0_inv
	ds_read_b128 v[0:3], v20 offset:17280
	ds_read_b128 v[8:11], v20 offset:10368
	ds_read_b128 v[12:15], v20 offset:12096
	ds_read_b128 v[22:25], v20 offset:19008
	ds_read_b128 v[16:19], v20 offset:3456
	ds_read_b128 v[26:29], v20 offset:5184
	ds_read_b128 v[30:33], v20
	ds_read_b128 v[34:37], v20 offset:6912
	ds_read_b128 v[38:41], v20 offset:13824
	s_waitcnt lgkmcnt(7)
	v_add_f64 v[42:43], v[10:11], v[2:3]
	v_add_f64 v[54:55], v[8:9], v[0:1]
	s_waitcnt lgkmcnt(5)
	v_add_f64 v[50:51], v[14:15], v[24:25]
	v_add_f64 v[56:57], v[8:9], -v[0:1]
	v_add_f64 v[60:61], v[12:13], v[22:23]
	v_add_f64 v[62:63], v[12:13], -v[22:23]
	s_waitcnt lgkmcnt(1)
	v_add_f64 v[66:67], v[30:31], v[34:35]
	v_add_f64 v[68:69], v[32:33], v[36:37]
	s_waitcnt lgkmcnt(0)
	v_add_f64 v[70:71], v[34:35], v[38:39]
	v_add_f64 v[72:73], v[36:37], v[40:41]
	;; [unrolled: 1-line block ×4, first 2 shown]
	v_add_f64 v[10:11], v[10:11], -v[2:3]
	v_add_f64 v[12:13], v[26:27], v[12:13]
	v_add_f64 v[34:35], v[34:35], -v[38:39]
	v_add_f64 v[36:37], v[36:37], -v[40:41]
	v_fma_f64 v[58:59], v[42:43], -0.5, v[18:19]
	ds_read_b128 v[42:45], v20 offset:8640
	ds_read_b128 v[46:49], v20 offset:15552
	v_fma_f64 v[64:65], v[50:51], -0.5, v[28:29]
	ds_read_b128 v[50:53], v20 offset:1728
	v_fma_f64 v[16:17], v[54:55], -0.5, v[16:17]
	v_fma_f64 v[26:27], v[60:61], -0.5, v[26:27]
	v_add_f64 v[28:29], v[28:29], v[14:15]
	v_add_f64 v[14:15], v[14:15], -v[24:25]
	v_add_f64 v[38:39], v[66:67], v[38:39]
	v_add_f64 v[40:41], v[68:69], v[40:41]
	v_fma_f64 v[30:31], v[70:71], -0.5, v[30:31]
	v_fma_f64 v[32:33], v[72:73], -0.5, v[32:33]
	v_add_f64 v[8:9], v[8:9], v[0:1]
	v_add_f64 v[74:75], v[74:75], v[2:3]
	;; [unrolled: 1-line block ×3, first 2 shown]
	v_mul_lo_u16 v18, 0xab, v21
	s_waitcnt lgkmcnt(0)
	s_barrier
	buffer_gl0_inv
	v_mul_lo_u16 v21, v21, 57
	v_lshrrev_b16 v18, 10, v18
	v_add_f64 v[76:77], v[42:43], v[46:47]
	v_fma_f64 v[54:55], v[56:57], s[6:7], v[58:59]
	v_fma_f64 v[56:57], v[56:57], s[4:5], v[58:59]
	v_add_f64 v[58:59], v[44:45], v[48:49]
	v_fma_f64 v[60:61], v[62:63], s[6:7], v[64:65]
	v_fma_f64 v[62:63], v[62:63], s[4:5], v[64:65]
	v_add_f64 v[64:65], v[50:51], v[42:43]
	v_add_f64 v[66:67], v[52:53], v[44:45]
	v_fma_f64 v[68:69], v[10:11], s[4:5], v[16:17]
	v_fma_f64 v[10:11], v[10:11], s[6:7], v[16:17]
	v_add_f64 v[44:45], v[44:45], -v[48:49]
	v_add_f64 v[42:43], v[42:43], -v[46:47]
	v_add_f64 v[24:25], v[28:29], v[24:25]
	v_add_f64 v[0:1], v[38:39], v[8:9]
	;; [unrolled: 1-line block ×3, first 2 shown]
	v_add_f64 v[8:9], v[38:39], -v[8:9]
	v_mul_lo_u16 v19, v18, 6
	v_sub_nc_u16 v19, v4, v19
	v_fma_f64 v[50:51], v[76:77], -0.5, v[50:51]
	v_mul_f64 v[70:71], v[54:55], s[4:5]
	v_mul_f64 v[54:55], v[54:55], 0.5
	v_mul_f64 v[16:17], v[56:57], s[4:5]
	v_mul_f64 v[56:57], v[56:57], -0.5
	v_fma_f64 v[52:53], v[58:59], -0.5, v[52:53]
	v_fma_f64 v[58:59], v[14:15], s[4:5], v[26:27]
	v_mul_f64 v[72:73], v[60:61], s[4:5]
	v_mul_f64 v[60:61], v[60:61], 0.5
	v_fma_f64 v[14:15], v[14:15], s[6:7], v[26:27]
	v_mul_f64 v[26:27], v[62:63], s[4:5]
	v_mul_f64 v[62:63], v[62:63], -0.5
	v_add_f64 v[46:47], v[64:65], v[46:47]
	v_add_f64 v[48:49], v[66:67], v[48:49]
	v_fma_f64 v[64:65], v[36:37], s[4:5], v[30:31]
	v_fma_f64 v[66:67], v[34:35], s[6:7], v[32:33]
	;; [unrolled: 1-line block ×4, first 2 shown]
	v_fma_f64 v[70:71], v[68:69], 0.5, v[70:71]
	v_fma_f64 v[54:55], v[68:69], s[6:7], v[54:55]
	v_fma_f64 v[68:69], v[36:37], s[6:7], v[30:31]
	v_fma_f64 v[16:17], v[10:11], -0.5, v[16:17]
	v_fma_f64 v[56:57], v[10:11], s[6:7], v[56:57]
	v_fma_f64 v[80:81], v[42:43], s[6:7], v[52:53]
	v_fma_f64 v[72:73], v[58:59], 0.5, v[72:73]
	v_fma_f64 v[58:59], v[58:59], s[6:7], v[60:61]
	v_fma_f64 v[60:61], v[44:45], s[6:7], v[50:51]
	;; [unrolled: 1-line block ×3, first 2 shown]
	v_fma_f64 v[84:85], v[14:15], -0.5, v[26:27]
	v_fma_f64 v[62:63], v[14:15], s[6:7], v[62:63]
	v_add_f64 v[10:11], v[40:41], -v[74:75]
	v_add_f64 v[12:13], v[46:47], v[22:23]
	v_add_f64 v[14:15], v[48:49], v[24:25]
	v_add_f64 v[22:23], v[46:47], -v[22:23]
	v_add_f64 v[24:25], v[48:49], -v[24:25]
	v_add_f64 v[26:27], v[64:65], v[70:71]
	v_add_f64 v[28:29], v[66:67], v[54:55]
	v_add_f64 v[30:31], v[64:65], -v[70:71]
	v_add_f64 v[34:35], v[68:69], v[16:17]
	v_add_f64 v[36:37], v[76:77], v[56:57]
	v_add_f64 v[32:33], v[66:67], -v[54:55]
	v_add_f64 v[38:39], v[68:69], -v[16:17]
	;; [unrolled: 1-line block ×3, first 2 shown]
	v_add_f64 v[42:43], v[78:79], v[72:73]
	v_add_f64 v[44:45], v[80:81], v[58:59]
	;; [unrolled: 1-line block ×4, first 2 shown]
	v_add_f64 v[46:47], v[78:79], -v[72:73]
	v_add_f64 v[48:49], v[80:81], -v[58:59]
	;; [unrolled: 1-line block ×4, first 2 shown]
	v_mul_u32_u24_sdwa v16, v19, v5 dst_sel:DWORD dst_unused:UNUSED_PAD src0_sel:BYTE_0 src1_sel:DWORD
	v_mad_u32_u24 v17, 0x50, v4, v20
	ds_write_b128 v17, v[0:3]
	ds_write_b128 v17, v[8:11] offset:48
	ds_write_b128 v17, v[12:15] offset:10368
	;; [unrolled: 1-line block ×11, first 2 shown]
	v_lshlrev_b32_e32 v16, 4, v16
	s_waitcnt lgkmcnt(0)
	s_barrier
	buffer_gl0_inv
	s_clause 0x4
	global_load_dwordx4 v[0:3], v16, s[8:9]
	global_load_dwordx4 v[8:11], v16, s[8:9] offset:16
	global_load_dwordx4 v[12:15], v16, s[8:9] offset:32
	;; [unrolled: 1-line block ×4, first 2 shown]
	ds_read_b128 v[35:38], v20 offset:3456
	ds_read_b128 v[39:42], v20 offset:6912
	v_add_nc_u16 v24, v4, 0x6c
	ds_read_b128 v[43:46], v20 offset:10368
	ds_read_b128 v[47:50], v20 offset:5184
	;; [unrolled: 1-line block ×5, first 2 shown]
	v_and_b32_e32 v25, 0xff, v24
	v_mul_lo_u16 v16, 0xab, v25
	v_lshrrev_b16 v23, 10, v16
	v_mul_lo_u16 v22, v23, 6
	v_sub_nc_u16 v26, v24, v22
	v_mul_u32_u24_sdwa v22, v26, v5 dst_sel:DWORD dst_unused:UNUSED_PAD src0_sel:BYTE_0 src1_sel:DWORD
	v_lshlrev_b32_e32 v22, 4, v22
	global_load_dwordx4 v[59:62], v22, s[8:9] offset:16
	s_waitcnt vmcnt(5) lgkmcnt(6)
	v_mul_f64 v[16:17], v[37:38], v[2:3]
	v_mul_f64 v[2:3], v[35:36], v[2:3]
	s_waitcnt vmcnt(4) lgkmcnt(5)
	v_mul_f64 v[67:68], v[41:42], v[10:11]
	v_mul_f64 v[10:11], v[39:40], v[10:11]
	;; [unrolled: 3-line block ×3, first 2 shown]
	v_fma_f64 v[73:74], v[35:36], v[0:1], v[16:17]
	v_fma_f64 v[75:76], v[37:38], v[0:1], -v[2:3]
	s_waitcnt vmcnt(2) lgkmcnt(2)
	v_mul_f64 v[2:3], v[53:54], v[29:30]
	ds_read_b128 v[14:17], v20 offset:17280
	v_mul_f64 v[29:30], v[51:52], v[29:30]
	v_fma_f64 v[77:78], v[39:40], v[8:9], v[67:68]
	v_fma_f64 v[0:1], v[41:42], v[8:9], -v[10:11]
	global_load_dwordx4 v[39:42], v22, s[8:9] offset:48
	v_fma_f64 v[79:80], v[43:44], v[12:13], v[69:70]
	v_fma_f64 v[71:72], v[45:46], v[12:13], -v[71:72]
	global_load_dwordx4 v[43:46], v22, s[8:9]
	ds_read_b128 v[67:70], v20 offset:19008
	ds_read_b128 v[35:38], v20 offset:15552
	s_waitcnt vmcnt(3) lgkmcnt(2)
	v_mul_f64 v[10:11], v[14:15], v[33:34]
	v_fma_f64 v[51:52], v[51:52], v[27:28], v[2:3]
	v_mul_f64 v[2:3], v[16:17], v[33:34]
	v_fma_f64 v[8:9], v[53:54], v[27:28], -v[29:30]
	global_load_dwordx4 v[27:30], v22, s[8:9] offset:32
	v_fma_f64 v[10:11], v[16:17], v[31:32], -v[10:11]
	v_fma_f64 v[12:13], v[14:15], v[31:32], v[2:3]
	global_load_dwordx4 v[31:34], v22, s[8:9] offset:64
	s_waitcnt vmcnt(4)
	v_mul_f64 v[2:3], v[57:58], v[61:62]
	v_mul_f64 v[14:15], v[55:56], v[61:62]
	v_lshrrev_b16 v22, 11, v21
	v_mov_b32_e32 v21, 4
	v_lshlrev_b32_sdwa v83, v21, v19 dst_sel:DWORD dst_unused:UNUSED_PAD src0_sel:DWORD src1_sel:BYTE_0
	v_lshlrev_b32_sdwa v26, v21, v26 dst_sel:DWORD dst_unused:UNUSED_PAD src0_sel:DWORD src1_sel:BYTE_0
	v_add_f64 v[61:62], v[79:80], v[12:13]
	v_fma_f64 v[16:17], v[55:56], v[59:60], v[2:3]
	v_fma_f64 v[53:54], v[57:58], v[59:60], -v[14:15]
	v_add_f64 v[57:58], v[0:1], v[8:9]
	v_fma_f64 v[61:62], v[61:62], -0.5, v[73:74]
	s_waitcnt vmcnt(3) lgkmcnt(0)
	v_mul_f64 v[2:3], v[37:38], v[41:42]
	v_mul_f64 v[41:42], v[35:36], v[41:42]
	s_waitcnt vmcnt(2)
	v_mul_f64 v[55:56], v[49:50], v[45:46]
	v_mul_f64 v[45:46], v[47:48], v[45:46]
	v_fma_f64 v[14:15], v[35:36], v[39:40], v[2:3]
	v_fma_f64 v[2:3], v[37:38], v[39:40], -v[41:42]
	s_waitcnt vmcnt(1)
	v_mul_f64 v[35:36], v[65:66], v[29:30]
	v_mul_f64 v[29:30], v[63:64], v[29:30]
	v_fma_f64 v[41:42], v[47:48], v[43:44], v[55:56]
	v_fma_f64 v[43:44], v[49:50], v[43:44], -v[45:46]
	v_add_f64 v[45:46], v[71:72], v[10:11]
	v_add_f64 v[55:56], v[77:78], v[51:52]
	s_waitcnt vmcnt(0)
	v_mul_f64 v[37:38], v[69:70], v[33:34]
	v_mul_f64 v[39:40], v[67:68], v[33:34]
	v_add_f64 v[59:60], v[53:54], v[2:3]
	v_fma_f64 v[47:48], v[63:64], v[27:28], v[35:36]
	v_fma_f64 v[49:50], v[65:66], v[27:28], -v[29:30]
	v_add_f64 v[63:64], v[79:80], -v[12:13]
	ds_read_b128 v[27:30], v20
	ds_read_b128 v[33:36], v20 offset:1728
	v_fma_f64 v[45:46], v[45:46], -0.5, v[75:76]
	s_waitcnt lgkmcnt(0)
	s_barrier
	buffer_gl0_inv
	v_fma_f64 v[37:38], v[67:68], v[31:32], v[37:38]
	v_fma_f64 v[31:32], v[69:70], v[31:32], -v[39:40]
	v_add_f64 v[39:40], v[16:17], v[14:15]
	v_add_f64 v[65:66], v[27:28], v[77:78]
	v_fma_f64 v[27:28], v[55:56], -0.5, v[27:28]
	v_fma_f64 v[55:56], v[57:58], -0.5, v[29:30]
	v_add_f64 v[29:30], v[29:30], v[0:1]
	v_fma_f64 v[69:70], v[63:64], s[6:7], v[45:46]
	v_fma_f64 v[45:46], v[63:64], s[4:5], v[45:46]
	v_add_f64 v[57:58], v[33:34], v[16:17]
	v_add_f64 v[0:1], v[0:1], -v[8:9]
	v_add_f64 v[16:17], v[16:17], -v[14:15]
	v_add_f64 v[67:68], v[47:48], v[37:38]
	v_add_f64 v[63:64], v[49:50], v[31:32]
	v_fma_f64 v[33:34], v[39:40], -0.5, v[33:34]
	v_fma_f64 v[39:40], v[59:60], -0.5, v[35:36]
	v_add_f64 v[59:60], v[73:74], v[79:80]
	v_add_f64 v[35:36], v[35:36], v[53:54]
	v_add_f64 v[53:54], v[53:54], -v[2:3]
	v_mov_b32_e32 v79, 0x240
	v_add_f64 v[29:30], v[29:30], v[8:9]
	v_add_f64 v[57:58], v[57:58], v[14:15]
	v_mul_u32_u24_sdwa v82, v23, v79 dst_sel:DWORD dst_unused:UNUSED_PAD src0_sel:WORD_0 src1_sel:DWORD
	v_mul_u32_u24_sdwa v81, v18, v79 dst_sel:DWORD dst_unused:UNUSED_PAD src0_sel:WORD_0 src1_sel:DWORD
	v_add3_u32 v26, 0, v82, v26
	v_fma_f64 v[67:68], v[67:68], -0.5, v[41:42]
	v_add_f64 v[41:42], v[41:42], v[47:48]
	v_add_f64 v[47:48], v[47:48], -v[37:38]
	v_fma_f64 v[63:64], v[63:64], -0.5, v[43:44]
	v_add_f64 v[43:44], v[43:44], v[49:50]
	v_add_f64 v[49:50], v[49:50], -v[31:32]
	v_add_f64 v[8:9], v[59:60], v[12:13]
	v_mul_f64 v[59:60], v[69:70], s[4:5]
	v_add_f64 v[35:36], v[35:36], v[2:3]
	v_add_f64 v[37:38], v[41:42], v[37:38]
	v_fma_f64 v[41:42], v[0:1], s[4:5], v[27:28]
	v_fma_f64 v[73:74], v[47:48], s[6:7], v[63:64]
	;; [unrolled: 1-line block ×3, first 2 shown]
	v_add_f64 v[63:64], v[75:76], v[71:72]
	v_add_f64 v[71:72], v[71:72], -v[10:11]
	v_add_f64 v[75:76], v[77:78], -v[51:52]
	v_add_f64 v[51:52], v[65:66], v[51:52]
	v_mul_f64 v[65:66], v[69:70], 0.5
	v_fma_f64 v[14:15], v[49:50], s[4:5], v[67:68]
	v_fma_f64 v[49:50], v[49:50], s[6:7], v[67:68]
	v_mul_lo_u16 v77, v22, 36
	v_add_f64 v[31:32], v[43:44], v[31:32]
	v_fma_f64 v[43:44], v[0:1], s[6:7], v[27:28]
	v_sub_nc_u16 v23, v4, v77
	v_fma_f64 v[77:78], v[53:54], s[6:7], v[33:34]
	v_mul_f64 v[69:70], v[73:74], s[4:5]
	v_mul_f64 v[67:68], v[47:48], s[4:5]
	v_add_f64 v[10:11], v[63:64], v[10:11]
	v_fma_f64 v[12:13], v[71:72], s[4:5], v[61:62]
	v_fma_f64 v[61:62], v[71:72], s[6:7], v[61:62]
	v_mul_f64 v[63:64], v[45:46], s[4:5]
	v_mul_f64 v[45:46], v[45:46], -0.5
	v_mul_f64 v[71:72], v[73:74], 0.5
	v_mul_f64 v[47:48], v[47:48], -0.5
	v_fma_f64 v[73:74], v[75:76], s[6:7], v[55:56]
	v_fma_f64 v[55:56], v[75:76], s[4:5], v[55:56]
	;; [unrolled: 1-line block ×3, first 2 shown]
	v_add_f64 v[0:1], v[51:52], v[8:9]
	v_add_f64 v[8:9], v[51:52], -v[8:9]
	v_add_f64 v[18:19], v[35:36], -v[31:32]
	v_fma_f64 v[53:54], v[14:15], 0.5, v[69:70]
	v_fma_f64 v[67:68], v[49:50], -0.5, v[67:68]
	v_add_f64 v[2:3], v[29:30], v[10:11]
	v_fma_f64 v[59:60], v[12:13], 0.5, v[59:60]
	v_fma_f64 v[65:66], v[12:13], s[6:7], v[65:66]
	v_fma_f64 v[63:64], v[61:62], -0.5, v[63:64]
	v_fma_f64 v[45:46], v[61:62], s[6:7], v[45:46]
	v_fma_f64 v[61:62], v[16:17], s[6:7], v[39:40]
	;; [unrolled: 1-line block ×5, first 2 shown]
	v_add_f64 v[10:11], v[29:30], -v[10:11]
	v_add_f64 v[12:13], v[57:58], v[37:38]
	v_add_f64 v[14:15], v[35:36], v[31:32]
	v_add_f64 v[16:17], v[57:58], -v[37:38]
	v_add_f64 v[47:48], v[75:76], -v[53:54]
	v_add_f64 v[51:52], v[77:78], v[67:68]
	v_add_f64 v[27:28], v[41:42], v[59:60]
	;; [unrolled: 1-line block ×5, first 2 shown]
	v_add_f64 v[31:32], v[41:42], -v[59:60]
	v_add_f64 v[33:34], v[73:74], -v[65:66]
	;; [unrolled: 1-line block ×4, first 2 shown]
	v_add_f64 v[43:44], v[75:76], v[53:54]
	v_add_f64 v[45:46], v[61:62], v[69:70]
	;; [unrolled: 1-line block ×3, first 2 shown]
	v_add_f64 v[49:50], v[61:62], -v[69:70]
	v_add_f64 v[55:56], v[77:78], -v[67:68]
	;; [unrolled: 1-line block ×3, first 2 shown]
	v_mul_u32_u24_sdwa v59, v23, v5 dst_sel:DWORD dst_unused:UNUSED_PAD src0_sel:BYTE_0 src1_sel:DWORD
	v_add3_u32 v60, 0, v81, v83
	ds_write_b128 v60, v[0:3]
	ds_write_b128 v60, v[8:11] offset:288
	ds_write_b128 v60, v[27:30] offset:96
	;; [unrolled: 1-line block ×5, first 2 shown]
	ds_write_b128 v26, v[12:15]
	ds_write_b128 v26, v[43:46] offset:96
	ds_write_b128 v26, v[51:54] offset:192
	;; [unrolled: 1-line block ×5, first 2 shown]
	v_lshlrev_b32_e32 v59, 4, v59
	s_waitcnt lgkmcnt(0)
	s_barrier
	buffer_gl0_inv
	s_clause 0x3
	global_load_dwordx4 v[0:3], v59, s[8:9] offset:480
	global_load_dwordx4 v[10:13], v59, s[8:9] offset:496
	global_load_dwordx4 v[14:17], v59, s[8:9] offset:512
	global_load_dwordx4 v[26:29], v59, s[8:9] offset:528
	v_mul_lo_u16 v8, v25, 57
	v_lshlrev_b32_sdwa v23, v21, v23 dst_sel:DWORD dst_unused:UNUSED_PAD src0_sel:DWORD src1_sel:BYTE_0
	v_lshrrev_b16 v25, 11, v8
	v_mul_lo_u16 v8, v25, 36
	v_sub_nc_u16 v24, v24, v8
	v_mul_u32_u24_sdwa v5, v24, v5 dst_sel:DWORD dst_unused:UNUSED_PAD src0_sel:BYTE_0 src1_sel:DWORD
	v_lshlrev_b32_sdwa v24, v21, v24 dst_sel:DWORD dst_unused:UNUSED_PAD src0_sel:DWORD src1_sel:BYTE_0
	v_lshlrev_b32_e32 v5, 4, v5
	s_clause 0x5
	global_load_dwordx4 v[30:33], v5, s[8:9] offset:496
	global_load_dwordx4 v[34:37], v5, s[8:9] offset:528
	;; [unrolled: 1-line block ×6, first 2 shown]
	ds_read_b128 v[54:57], v20 offset:3456
	ds_read_b128 v[58:61], v20 offset:6912
	;; [unrolled: 1-line block ×5, first 2 shown]
	v_mul_u32_u24_e32 v5, 5, v4
	v_lshlrev_b32_e32 v5, 4, v5
	v_add_co_u32 v5, s0, s8, v5
	v_add_co_ci_u32_e64 v84, null, s9, 0, s0
	v_add_co_u32 v21, s0, 0x800, v5
	s_waitcnt vmcnt(9) lgkmcnt(4)
	v_mul_f64 v[8:9], v[56:57], v[2:3]
	v_mul_f64 v[2:3], v[54:55], v[2:3]
	s_waitcnt vmcnt(8) lgkmcnt(3)
	v_mul_f64 v[18:19], v[60:61], v[12:13]
	v_mul_f64 v[12:13], v[58:59], v[12:13]
	;; [unrolled: 3-line block ×3, first 2 shown]
	v_fma_f64 v[74:75], v[54:55], v[0:1], v[8:9]
	v_fma_f64 v[76:77], v[56:57], v[0:1], -v[2:3]
	ds_read_b128 v[54:57], v20 offset:12096
	v_fma_f64 v[8:9], v[58:59], v[10:11], v[18:19]
	v_fma_f64 v[10:11], v[60:61], v[10:11], -v[12:13]
	ds_read_b128 v[0:3], v20 offset:13824
	ds_read_b128 v[58:61], v20 offset:15552
	v_fma_f64 v[70:71], v[70:71], v[14:15], v[78:79]
	v_fma_f64 v[72:73], v[72:73], v[14:15], -v[16:17]
	s_waitcnt vmcnt(5)
	v_mul_f64 v[16:17], v[68:69], v[32:33]
	v_mul_f64 v[18:19], v[66:67], v[32:33]
	s_waitcnt lgkmcnt(1)
	v_mul_f64 v[12:13], v[2:3], v[28:29]
	v_mul_f64 v[14:15], v[0:1], v[28:29]
	v_fma_f64 v[16:17], v[66:67], v[30:31], v[16:17]
	v_fma_f64 v[18:19], v[68:69], v[30:31], -v[18:19]
	ds_read_b128 v[30:33], v20 offset:19008
	v_fma_f64 v[12:13], v[0:1], v[26:27], v[12:13]
	v_fma_f64 v[14:15], v[2:3], v[26:27], -v[14:15]
	ds_read_b128 v[26:29], v20 offset:17280
	s_waitcnt vmcnt(4) lgkmcnt(2)
	v_mul_f64 v[0:1], v[60:61], v[36:37]
	v_mul_f64 v[2:3], v[58:59], v[36:37]
	s_waitcnt vmcnt(3) lgkmcnt(0)
	v_mul_f64 v[36:37], v[28:29], v[40:41]
	v_mul_f64 v[40:41], v[26:27], v[40:41]
	v_fma_f64 v[0:1], v[58:59], v[34:35], v[0:1]
	v_fma_f64 v[2:3], v[60:61], v[34:35], -v[2:3]
	s_waitcnt vmcnt(2)
	v_mul_f64 v[34:35], v[54:55], v[44:45]
	s_waitcnt vmcnt(1)
	v_mul_f64 v[58:59], v[30:31], v[48:49]
	v_mul_f64 v[44:45], v[56:57], v[44:45]
	;; [unrolled: 1-line block ×3, first 2 shown]
	v_fma_f64 v[36:37], v[26:27], v[38:39], v[36:37]
	v_fma_f64 v[38:39], v[28:29], v[38:39], -v[40:41]
	s_waitcnt vmcnt(0)
	v_mul_f64 v[40:41], v[62:63], v[52:53]
	v_mul_f64 v[52:53], v[64:65], v[52:53]
	v_fma_f64 v[56:57], v[56:57], v[42:43], -v[34:35]
	v_fma_f64 v[58:59], v[32:33], v[46:47], -v[58:59]
	v_fma_f64 v[42:43], v[54:55], v[42:43], v[44:45]
	v_add_f64 v[44:45], v[8:9], v[12:13]
	v_add_f64 v[54:55], v[10:11], v[14:15]
	v_fma_f64 v[30:31], v[30:31], v[46:47], v[48:49]
	v_add_f64 v[46:47], v[16:17], v[0:1]
	v_add_f64 v[48:49], v[18:19], v[2:3]
	ds_read_b128 v[26:29], v20
	ds_read_b128 v[32:35], v20 offset:1728
	s_waitcnt lgkmcnt(0)
	s_barrier
	buffer_gl0_inv
	v_add_f64 v[60:61], v[72:73], v[38:39]
	v_fma_f64 v[40:41], v[64:65], v[50:51], -v[40:41]
	v_fma_f64 v[50:51], v[62:63], v[50:51], v[52:53]
	v_add_f64 v[64:65], v[56:57], v[58:59]
	v_add_f64 v[52:53], v[26:27], v[8:9]
	;; [unrolled: 1-line block ×5, first 2 shown]
	v_fma_f64 v[26:27], v[44:45], -0.5, v[26:27]
	v_fma_f64 v[28:29], v[54:55], -0.5, v[28:29]
	v_add_f64 v[44:45], v[70:71], v[36:37]
	v_add_f64 v[54:55], v[70:71], -v[36:37]
	v_fma_f64 v[32:33], v[46:47], -0.5, v[32:33]
	v_fma_f64 v[34:35], v[48:49], -0.5, v[34:35]
	v_add_f64 v[46:47], v[42:43], v[30:31]
	v_add_f64 v[70:71], v[74:75], v[70:71]
	v_add_f64 v[8:9], v[8:9], -v[12:13]
	v_fma_f64 v[48:49], v[60:61], -0.5, v[76:77]
	v_add_f64 v[60:61], v[42:43], -v[30:31]
	v_add_f64 v[42:43], v[50:51], v[42:43]
	v_add_f64 v[76:77], v[76:77], v[72:73]
	v_add_f64 v[72:73], v[72:73], -v[38:39]
	v_fma_f64 v[64:65], v[64:65], -0.5, v[40:41]
	v_add_f64 v[10:11], v[10:11], -v[14:15]
	v_add_f64 v[40:41], v[40:41], v[56:57]
	v_add_f64 v[18:19], v[18:19], -v[2:3]
	v_add_f64 v[12:13], v[52:53], v[12:13]
	;; [unrolled: 2-line block ×3, first 2 shown]
	v_add_f64 v[66:67], v[66:67], v[0:1]
	v_add_f64 v[68:69], v[68:69], v[2:3]
	v_fma_f64 v[44:45], v[44:45], -0.5, v[74:75]
	v_add_f64 v[74:75], v[56:57], -v[58:59]
	v_fma_f64 v[46:47], v[46:47], -0.5, v[50:51]
	v_add_f64 v[36:37], v[70:71], v[36:37]
	v_fma_f64 v[50:51], v[54:55], s[6:7], v[48:49]
	v_fma_f64 v[48:49], v[54:55], s[4:5], v[48:49]
	v_add_f64 v[30:31], v[42:43], v[30:31]
	v_add_f64 v[38:39], v[76:77], v[38:39]
	v_fma_f64 v[54:55], v[60:61], s[6:7], v[64:65]
	v_fma_f64 v[60:61], v[60:61], s[4:5], v[64:65]
	v_mov_b32_e32 v64, 0xd80
	v_fma_f64 v[42:43], v[10:11], s[4:5], v[26:27]
	v_add_f64 v[40:41], v[40:41], v[58:59]
	v_fma_f64 v[58:59], v[10:11], s[6:7], v[26:27]
	v_fma_f64 v[76:77], v[18:19], s[4:5], v[32:33]
	v_mul_u32_u24_sdwa v82, v22, v64 dst_sel:DWORD dst_unused:UNUSED_PAD src0_sel:WORD_0 src1_sel:DWORD
	v_mul_u32_u24_sdwa v83, v25, v64 dst_sel:DWORD dst_unused:UNUSED_PAD src0_sel:WORD_0 src1_sel:DWORD
	v_fma_f64 v[80:81], v[16:17], s[6:7], v[34:35]
	v_fma_f64 v[52:53], v[72:73], s[4:5], v[44:45]
	;; [unrolled: 1-line block ×4, first 2 shown]
	v_add_co_ci_u32_e64 v22, s0, 0, v84, s0
	v_fma_f64 v[62:63], v[74:75], s[4:5], v[46:47]
	v_fma_f64 v[46:47], v[74:75], s[6:7], v[46:47]
	v_mul_f64 v[56:57], v[50:51], s[4:5]
	v_mul_f64 v[50:51], v[50:51], 0.5
	v_mul_f64 v[64:65], v[48:49], s[4:5]
	v_mul_f64 v[48:49], v[48:49], -0.5
	v_fma_f64 v[74:75], v[8:9], s[6:7], v[28:29]
	v_mul_f64 v[70:71], v[54:55], s[4:5]
	v_mul_f64 v[54:55], v[54:55], 0.5
	v_mul_f64 v[72:73], v[60:61], s[4:5]
	v_mul_f64 v[60:61], v[60:61], -0.5
	v_add_f64 v[0:1], v[12:13], v[36:37]
	v_add_f64 v[2:3], v[14:15], v[38:39]
	v_add_f64 v[10:11], v[14:15], -v[38:39]
	v_add_f64 v[14:15], v[68:69], v[40:41]
	v_add_f64 v[18:19], v[68:69], -v[40:41]
	v_add3_u32 v23, 0, v82, v23
	v_add3_u32 v24, 0, v83, v24
	v_fma_f64 v[56:57], v[52:53], 0.5, v[56:57]
	v_fma_f64 v[50:51], v[52:53], s[6:7], v[50:51]
	v_fma_f64 v[52:53], v[8:9], s[4:5], v[28:29]
	v_fma_f64 v[64:65], v[44:45], -0.5, v[64:65]
	v_fma_f64 v[44:45], v[44:45], s[6:7], v[48:49]
	v_fma_f64 v[48:49], v[62:63], 0.5, v[70:71]
	v_fma_f64 v[54:55], v[62:63], s[6:7], v[54:55]
	v_fma_f64 v[62:63], v[16:17], s[4:5], v[34:35]
	v_fma_f64 v[70:71], v[46:47], -0.5, v[72:73]
	v_fma_f64 v[60:61], v[46:47], s[6:7], v[60:61]
	v_add_f64 v[8:9], v[12:13], -v[36:37]
	v_add_f64 v[12:13], v[66:67], v[30:31]
	v_add_f64 v[16:17], v[66:67], -v[30:31]
	v_add_f64 v[25:26], v[42:43], v[56:57]
	v_add_f64 v[27:28], v[74:75], v[50:51]
	v_add_f64 v[29:30], v[42:43], -v[56:57]
	v_add_f64 v[33:34], v[58:59], v[64:65]
	v_add_f64 v[35:36], v[52:53], v[44:45]
	v_add_f64 v[31:32], v[74:75], -v[50:51]
	v_add_f64 v[37:38], v[58:59], -v[64:65]
	v_add_f64 v[39:40], v[52:53], -v[44:45]
	v_add_f64 v[41:42], v[76:77], v[48:49]
	v_add_f64 v[43:44], v[80:81], v[54:55]
	v_add_f64 v[45:46], v[76:77], -v[48:49]
	v_add_f64 v[49:50], v[78:79], v[70:71]
	v_add_f64 v[51:52], v[62:63], v[60:61]
	v_add_f64 v[47:48], v[80:81], -v[54:55]
	v_add_f64 v[53:54], v[78:79], -v[70:71]
	;; [unrolled: 1-line block ×3, first 2 shown]
	ds_write_b128 v23, v[0:3]
	ds_write_b128 v23, v[8:11] offset:1728
	ds_write_b128 v23, v[25:28] offset:576
	;; [unrolled: 1-line block ×5, first 2 shown]
	ds_write_b128 v24, v[12:15]
	ds_write_b128 v24, v[41:44] offset:576
	ds_write_b128 v24, v[49:52] offset:1152
	;; [unrolled: 1-line block ×5, first 2 shown]
	s_waitcnt lgkmcnt(0)
	s_barrier
	buffer_gl0_inv
	global_load_dwordx4 v[0:3], v[21:22], off offset:1312
	v_add_co_u32 v16, s0, 0xd20, v5
	v_add_co_ci_u32_e64 v17, s0, 0, v84, s0
	s_clause 0x3
	global_load_dwordx4 v[8:11], v[16:17], off offset:16
	global_load_dwordx4 v[12:15], v[16:17], off offset:32
	;; [unrolled: 1-line block ×4, first 2 shown]
	v_add_co_u32 v41, s0, 0x2ee0, v5
	v_add_co_ci_u32_e64 v42, s0, 0, v84, s0
	v_add_co_u32 v33, s0, 0x2800, v5
	v_add_co_ci_u32_e64 v34, s0, 0, v84, s0
	s_clause 0x4
	global_load_dwordx4 v[25:28], v[41:42], off offset:32
	global_load_dwordx4 v[29:32], v[33:34], off offset:1824
	;; [unrolled: 1-line block ×5, first 2 shown]
	ds_read_b128 v[45:48], v20 offset:3456
	ds_read_b128 v[49:52], v20 offset:6912
	;; [unrolled: 1-line block ×6, first 2 shown]
	s_waitcnt vmcnt(9) lgkmcnt(5)
	v_mul_f64 v[69:70], v[47:48], v[2:3]
	v_mul_f64 v[2:3], v[45:46], v[2:3]
	s_waitcnt vmcnt(8) lgkmcnt(4)
	v_mul_f64 v[71:72], v[51:52], v[10:11]
	v_mul_f64 v[10:11], v[49:50], v[10:11]
	v_fma_f64 v[69:70], v[45:46], v[0:1], v[69:70]
	v_fma_f64 v[73:74], v[47:48], v[0:1], -v[2:3]
	ds_read_b128 v[0:3], v20 offset:13824
	s_waitcnt vmcnt(7) lgkmcnt(3)
	v_mul_f64 v[45:46], v[59:60], v[14:15]
	v_mul_f64 v[14:15], v[57:58], v[14:15]
	v_fma_f64 v[49:50], v[49:50], v[8:9], v[71:72]
	v_fma_f64 v[51:52], v[51:52], v[8:9], -v[10:11]
	ds_read_b128 v[8:11], v20 offset:15552
	;; [unrolled: 6-line block ×3, first 2 shown]
	ds_read_b128 v[45:48], v20 offset:19008
	v_fma_f64 v[71:72], v[0:1], v[16:17], v[71:72]
	v_fma_f64 v[16:17], v[2:3], v[16:17], -v[18:19]
	s_waitcnt vmcnt(5) lgkmcnt(1)
	v_mul_f64 v[2:3], v[12:13], v[23:24]
	v_mul_f64 v[0:1], v[14:15], v[23:24]
	s_waitcnt vmcnt(4)
	v_mul_f64 v[18:19], v[61:62], v[27:28]
	s_waitcnt vmcnt(3) lgkmcnt(0)
	v_mul_f64 v[23:24], v[45:46], v[31:32]
	v_fma_f64 v[14:15], v[14:15], v[21:22], -v[2:3]
	v_fma_f64 v[12:13], v[12:13], v[21:22], v[0:1]
	v_mul_f64 v[0:1], v[63:64], v[27:28]
	v_mul_f64 v[2:3], v[47:48], v[31:32]
	s_waitcnt vmcnt(2)
	v_mul_f64 v[21:22], v[53:54], v[35:36]
	v_fma_f64 v[18:19], v[63:64], v[25:26], -v[18:19]
	v_fma_f64 v[23:24], v[47:48], v[29:30], -v[23:24]
	s_waitcnt vmcnt(1)
	v_mul_f64 v[27:28], v[67:68], v[39:40]
	v_mul_f64 v[31:32], v[65:66], v[39:40]
	s_waitcnt vmcnt(0)
	v_mul_f64 v[47:48], v[10:11], v[43:44]
	v_mul_f64 v[43:44], v[8:9], v[43:44]
	;; [unrolled: 1-line block ×3, first 2 shown]
	v_add_f64 v[39:40], v[59:60], v[14:15]
	v_fma_f64 v[25:26], v[61:62], v[25:26], v[0:1]
	v_fma_f64 v[29:30], v[45:46], v[29:30], v[2:3]
	v_fma_f64 v[21:22], v[55:56], v[33:34], -v[21:22]
	v_add_f64 v[55:56], v[57:58], -v[12:13]
	v_add_f64 v[45:46], v[18:19], v[23:24]
	v_fma_f64 v[27:28], v[65:66], v[37:38], v[27:28]
	v_fma_f64 v[31:32], v[67:68], v[37:38], -v[31:32]
	v_add_f64 v[37:38], v[57:58], v[12:13]
	ds_read_b128 v[0:3], v20
	v_fma_f64 v[47:48], v[8:9], v[41:42], v[47:48]
	v_fma_f64 v[41:42], v[10:11], v[41:42], -v[43:44]
	ds_read_b128 v[8:11], v20 offset:1728
	v_fma_f64 v[33:34], v[53:54], v[33:34], v[35:36]
	v_add_f64 v[53:54], v[49:50], v[71:72]
	v_add_f64 v[61:62], v[51:52], v[16:17]
	;; [unrolled: 1-line block ×3, first 2 shown]
	v_add_f64 v[67:68], v[59:60], -v[14:15]
	v_add_f64 v[59:60], v[73:74], v[59:60]
	v_add_f64 v[75:76], v[18:19], -v[23:24]
	s_waitcnt lgkmcnt(0)
	v_fma_f64 v[39:40], v[39:40], -0.5, v[73:74]
	s_barrier
	buffer_gl0_inv
	v_add_f64 v[35:36], v[25:26], v[29:30]
	v_add_f64 v[43:44], v[25:26], -v[29:30]
	v_add_f64 v[18:19], v[21:22], v[18:19]
	v_fma_f64 v[45:46], v[45:46], -0.5, v[21:22]
	v_add_f64 v[63:64], v[0:1], v[49:50]
	v_fma_f64 v[37:38], v[37:38], -0.5, v[69:70]
	v_add_f64 v[65:66], v[2:3], v[51:52]
	v_add_f64 v[21:22], v[8:9], v[27:28]
	;; [unrolled: 1-line block ×4, first 2 shown]
	v_fma_f64 v[0:1], v[53:54], -0.5, v[0:1]
	v_fma_f64 v[2:3], v[61:62], -0.5, v[2:3]
	v_add_f64 v[12:13], v[57:58], v[12:13]
	v_add_f64 v[14:15], v[59:60], v[14:15]
	v_fma_f64 v[69:70], v[55:56], s[6:7], v[39:40]
	v_fma_f64 v[39:40], v[55:56], s[4:5], v[39:40]
	v_add_f64 v[55:56], v[27:28], v[47:48]
	v_fma_f64 v[33:34], v[35:36], -0.5, v[33:34]
	v_add_f64 v[35:36], v[51:52], -v[16:17]
	v_add_f64 v[27:28], v[27:28], -v[47:48]
	v_fma_f64 v[51:52], v[43:44], s[6:7], v[45:46]
	v_fma_f64 v[43:44], v[43:44], s[4:5], v[45:46]
	v_add_f64 v[45:46], v[49:50], -v[71:72]
	v_add_f64 v[49:50], v[10:11], v[31:32]
	v_add_f64 v[53:54], v[63:64], v[71:72]
	v_fma_f64 v[61:62], v[67:68], s[4:5], v[37:38]
	v_fma_f64 v[37:38], v[67:68], s[6:7], v[37:38]
	v_add_f64 v[16:17], v[65:66], v[16:17]
	v_add_f64 v[31:32], v[31:32], -v[41:42]
	v_fma_f64 v[10:11], v[73:74], -0.5, v[10:11]
	v_add_f64 v[21:22], v[21:22], v[47:48]
	v_add_f64 v[25:26], v[25:26], v[29:30]
	;; [unrolled: 1-line block ×3, first 2 shown]
	v_mul_f64 v[63:64], v[69:70], s[4:5]
	v_mul_f64 v[67:68], v[69:70], 0.5
	v_mul_f64 v[65:66], v[39:40], s[4:5]
	v_mul_f64 v[39:40], v[39:40], -0.5
	v_fma_f64 v[8:9], v[55:56], -0.5, v[8:9]
	v_fma_f64 v[55:56], v[75:76], s[4:5], v[33:34]
	v_mul_f64 v[69:70], v[51:52], s[4:5]
	v_mul_f64 v[51:52], v[51:52], 0.5
	v_fma_f64 v[33:34], v[75:76], s[6:7], v[33:34]
	v_mul_f64 v[71:72], v[43:44], s[4:5]
	v_mul_f64 v[43:44], v[43:44], -0.5
	v_add_f64 v[41:42], v[49:50], v[41:42]
	v_fma_f64 v[29:30], v[35:36], s[4:5], v[0:1]
	v_fma_f64 v[47:48], v[45:46], s[6:7], v[2:3]
	;; [unrolled: 1-line block ×4, first 2 shown]
	v_add_f64 v[0:1], v[53:54], v[12:13]
	v_add_f64 v[2:3], v[16:17], v[14:15]
	v_fma_f64 v[49:50], v[61:62], 0.5, v[63:64]
	v_fma_f64 v[59:60], v[61:62], s[6:7], v[67:68]
	v_fma_f64 v[57:58], v[37:38], -0.5, v[65:66]
	v_fma_f64 v[37:38], v[37:38], s[6:7], v[39:40]
	v_fma_f64 v[61:62], v[31:32], s[4:5], v[8:9]
	;; [unrolled: 1-line block ×3, first 2 shown]
	v_fma_f64 v[69:70], v[55:56], 0.5, v[69:70]
	v_fma_f64 v[51:52], v[55:56], s[6:7], v[51:52]
	v_fma_f64 v[63:64], v[31:32], s[6:7], v[8:9]
	;; [unrolled: 1-line block ×3, first 2 shown]
	v_fma_f64 v[71:72], v[33:34], -0.5, v[71:72]
	v_fma_f64 v[55:56], v[33:34], s[6:7], v[43:44]
	v_add_f64 v[8:9], v[53:54], -v[12:13]
	v_add_f64 v[10:11], v[16:17], -v[14:15]
	v_add_f64 v[12:13], v[21:22], v[25:26]
	v_add_f64 v[14:15], v[41:42], v[18:19]
	v_add_f64 v[16:17], v[21:22], -v[25:26]
	v_add_f64 v[18:19], v[41:42], -v[18:19]
	v_add_f64 v[21:22], v[29:30], v[49:50]
	v_add_f64 v[23:24], v[47:48], v[59:60]
	;; [unrolled: 1-line block ×4, first 2 shown]
	v_add_f64 v[29:30], v[29:30], -v[49:50]
	v_add_f64 v[31:32], v[47:48], -v[59:60]
	;; [unrolled: 1-line block ×4, first 2 shown]
	v_add_f64 v[37:38], v[61:62], v[69:70]
	v_add_f64 v[39:40], v[65:66], v[51:52]
	;; [unrolled: 1-line block ×4, first 2 shown]
	v_add_f64 v[45:46], v[61:62], -v[69:70]
	v_add_f64 v[47:48], v[65:66], -v[51:52]
	;; [unrolled: 1-line block ×4, first 2 shown]
	ds_write_b128 v20, v[0:3]
	ds_write_b128 v20, v[8:11] offset:10368
	ds_write_b128 v20, v[12:15] offset:1728
	;; [unrolled: 1-line block ×11, first 2 shown]
	s_waitcnt lgkmcnt(0)
	s_barrier
	buffer_gl0_inv
	s_and_saveexec_b32 s0, vcc_lo
	s_cbranch_execz .LBB0_19
; %bb.18:
	v_lshl_add_u32 v32, v4, 4, 0
	v_mov_b32_e32 v5, 0
	v_add_nc_u32_e32 v12, 0x6c, v4
	v_add_co_u32 v33, vcc_lo, s2, v6
	ds_read_b128 v[0:3], v32
	ds_read_b128 v[8:11], v32 offset:1728
	v_mov_b32_e32 v13, v5
	v_lshlrev_b64 v[14:15], 4, v[4:5]
	v_add_co_ci_u32_e32 v34, vcc_lo, s3, v7, vcc_lo
	v_add_nc_u32_e32 v6, 0xd8, v4
	v_lshlrev_b64 v[12:13], 4, v[12:13]
	v_mov_b32_e32 v7, v5
	v_add_co_u32 v14, vcc_lo, v33, v14
	v_add_co_ci_u32_e32 v15, vcc_lo, v34, v15, vcc_lo
	v_add_co_u32 v12, vcc_lo, v33, v12
	v_add_co_ci_u32_e32 v13, vcc_lo, v34, v13, vcc_lo
	v_add_nc_u32_e32 v16, 0x144, v4
	v_mov_b32_e32 v17, v5
	v_add_nc_u32_e32 v18, 0x1b0, v4
	v_mov_b32_e32 v19, v5
	s_waitcnt lgkmcnt(1)
	global_store_dwordx4 v[14:15], v[0:3], off
	s_waitcnt lgkmcnt(0)
	global_store_dwordx4 v[12:13], v[8:11], off
	v_lshlrev_b64 v[14:15], 4, v[6:7]
	ds_read_b128 v[0:3], v32 offset:3456
	ds_read_b128 v[6:9], v32 offset:5184
	;; [unrolled: 1-line block ×3, first 2 shown]
	v_lshlrev_b64 v[16:17], 4, v[16:17]
	v_add_nc_u32_e32 v30, 0x288, v4
	v_mov_b32_e32 v31, v5
	v_add_co_u32 v22, vcc_lo, v33, v14
	v_add_co_ci_u32_e32 v23, vcc_lo, v34, v15, vcc_lo
	v_lshlrev_b64 v[14:15], 4, v[18:19]
	v_add_nc_u32_e32 v18, 0x21c, v4
	v_add_co_u32 v24, vcc_lo, v33, v16
	v_add_co_ci_u32_e32 v25, vcc_lo, v34, v17, vcc_lo
	v_lshlrev_b64 v[28:29], 4, v[18:19]
	ds_read_b128 v[18:21], v32 offset:10368
	v_add_co_u32 v26, vcc_lo, v33, v14
	v_add_co_ci_u32_e32 v27, vcc_lo, v34, v15, vcc_lo
	ds_read_b128 v[14:17], v32 offset:8640
	s_waitcnt lgkmcnt(4)
	global_store_dwordx4 v[22:23], v[0:3], off
	s_waitcnt lgkmcnt(3)
	global_store_dwordx4 v[24:25], v[6:9], off
	;; [unrolled: 2-line block ×3, first 2 shown]
	v_lshlrev_b64 v[0:1], 4, v[30:31]
	v_add_co_u32 v2, vcc_lo, v33, v28
	v_add_co_ci_u32_e32 v3, vcc_lo, v34, v29, vcc_lo
	v_add_nc_u32_e32 v6, 0x2f4, v4
	v_mov_b32_e32 v7, v5
	v_add_co_u32 v8, vcc_lo, v33, v0
	v_add_co_ci_u32_e32 v9, vcc_lo, v34, v1, vcc_lo
	v_add_nc_u32_e32 v10, 0x360, v4
	v_mov_b32_e32 v11, v5
	v_lshlrev_b64 v[6:7], 4, v[6:7]
	s_waitcnt lgkmcnt(1)
	global_store_dwordx4 v[8:9], v[18:21], off
	v_add_nc_u32_e32 v26, 0x438, v4
	v_mov_b32_e32 v27, v5
	v_lshlrev_b64 v[8:9], 4, v[10:11]
	s_waitcnt lgkmcnt(0)
	global_store_dwordx4 v[2:3], v[14:17], off
	v_add_co_u32 v22, vcc_lo, v33, v6
	v_add_nc_u32_e32 v14, 0x3cc, v4
	v_mov_b32_e32 v15, v5
	v_add_co_ci_u32_e32 v23, vcc_lo, v34, v7, vcc_lo
	v_add_co_u32 v24, vcc_lo, v33, v8
	ds_read_b128 v[0:3], v32 offset:12096
	v_add_co_ci_u32_e32 v25, vcc_lo, v34, v9, vcc_lo
	ds_read_b128 v[6:9], v32 offset:13824
	ds_read_b128 v[10:13], v32 offset:15552
	v_lshlrev_b64 v[28:29], 4, v[14:15]
	ds_read_b128 v[14:17], v32 offset:17280
	ds_read_b128 v[18:21], v32 offset:19008
	v_add_nc_u32_e32 v4, 0x4a4, v4
	v_lshlrev_b64 v[26:27], 4, v[26:27]
	v_add_co_u32 v28, vcc_lo, v33, v28
	v_lshlrev_b64 v[4:5], 4, v[4:5]
	v_add_co_ci_u32_e32 v29, vcc_lo, v34, v29, vcc_lo
	v_add_co_u32 v26, vcc_lo, v33, v26
	v_add_co_ci_u32_e32 v27, vcc_lo, v34, v27, vcc_lo
	v_add_co_u32 v4, vcc_lo, v33, v4
	v_add_co_ci_u32_e32 v5, vcc_lo, v34, v5, vcc_lo
	s_waitcnt lgkmcnt(4)
	global_store_dwordx4 v[22:23], v[0:3], off
	s_waitcnt lgkmcnt(3)
	global_store_dwordx4 v[24:25], v[6:9], off
	;; [unrolled: 2-line block ×5, first 2 shown]
.LBB0_19:
	s_endpgm
	.section	.rodata,"a",@progbits
	.p2align	6, 0x0
	.amdhsa_kernel fft_rtc_back_len1296_factors_6_6_6_6_wgs_108_tpt_108_halfLds_dp_ip_CI_unitstride_sbrr_C2R_dirReg
		.amdhsa_group_segment_fixed_size 0
		.amdhsa_private_segment_fixed_size 0
		.amdhsa_kernarg_size 88
		.amdhsa_user_sgpr_count 6
		.amdhsa_user_sgpr_private_segment_buffer 1
		.amdhsa_user_sgpr_dispatch_ptr 0
		.amdhsa_user_sgpr_queue_ptr 0
		.amdhsa_user_sgpr_kernarg_segment_ptr 1
		.amdhsa_user_sgpr_dispatch_id 0
		.amdhsa_user_sgpr_flat_scratch_init 0
		.amdhsa_user_sgpr_private_segment_size 0
		.amdhsa_wavefront_size32 1
		.amdhsa_uses_dynamic_stack 0
		.amdhsa_system_sgpr_private_segment_wavefront_offset 0
		.amdhsa_system_sgpr_workgroup_id_x 1
		.amdhsa_system_sgpr_workgroup_id_y 0
		.amdhsa_system_sgpr_workgroup_id_z 0
		.amdhsa_system_sgpr_workgroup_info 0
		.amdhsa_system_vgpr_workitem_id 0
		.amdhsa_next_free_vgpr 86
		.amdhsa_next_free_sgpr 21
		.amdhsa_reserve_vcc 1
		.amdhsa_reserve_flat_scratch 0
		.amdhsa_float_round_mode_32 0
		.amdhsa_float_round_mode_16_64 0
		.amdhsa_float_denorm_mode_32 3
		.amdhsa_float_denorm_mode_16_64 3
		.amdhsa_dx10_clamp 1
		.amdhsa_ieee_mode 1
		.amdhsa_fp16_overflow 0
		.amdhsa_workgroup_processor_mode 1
		.amdhsa_memory_ordered 1
		.amdhsa_forward_progress 0
		.amdhsa_shared_vgpr_count 0
		.amdhsa_exception_fp_ieee_invalid_op 0
		.amdhsa_exception_fp_denorm_src 0
		.amdhsa_exception_fp_ieee_div_zero 0
		.amdhsa_exception_fp_ieee_overflow 0
		.amdhsa_exception_fp_ieee_underflow 0
		.amdhsa_exception_fp_ieee_inexact 0
		.amdhsa_exception_int_div_zero 0
	.end_amdhsa_kernel
	.text
.Lfunc_end0:
	.size	fft_rtc_back_len1296_factors_6_6_6_6_wgs_108_tpt_108_halfLds_dp_ip_CI_unitstride_sbrr_C2R_dirReg, .Lfunc_end0-fft_rtc_back_len1296_factors_6_6_6_6_wgs_108_tpt_108_halfLds_dp_ip_CI_unitstride_sbrr_C2R_dirReg
                                        ; -- End function
	.section	.AMDGPU.csdata,"",@progbits
; Kernel info:
; codeLenInByte = 9324
; NumSgprs: 23
; NumVgprs: 86
; ScratchSize: 0
; MemoryBound: 0
; FloatMode: 240
; IeeeMode: 1
; LDSByteSize: 0 bytes/workgroup (compile time only)
; SGPRBlocks: 2
; VGPRBlocks: 10
; NumSGPRsForWavesPerEU: 23
; NumVGPRsForWavesPerEU: 86
; Occupancy: 10
; WaveLimiterHint : 1
; COMPUTE_PGM_RSRC2:SCRATCH_EN: 0
; COMPUTE_PGM_RSRC2:USER_SGPR: 6
; COMPUTE_PGM_RSRC2:TRAP_HANDLER: 0
; COMPUTE_PGM_RSRC2:TGID_X_EN: 1
; COMPUTE_PGM_RSRC2:TGID_Y_EN: 0
; COMPUTE_PGM_RSRC2:TGID_Z_EN: 0
; COMPUTE_PGM_RSRC2:TIDIG_COMP_CNT: 0
	.text
	.p2alignl 6, 3214868480
	.fill 48, 4, 3214868480
	.type	__hip_cuid_82b20aa6adefe5ae,@object ; @__hip_cuid_82b20aa6adefe5ae
	.section	.bss,"aw",@nobits
	.globl	__hip_cuid_82b20aa6adefe5ae
__hip_cuid_82b20aa6adefe5ae:
	.byte	0                               ; 0x0
	.size	__hip_cuid_82b20aa6adefe5ae, 1

	.ident	"AMD clang version 19.0.0git (https://github.com/RadeonOpenCompute/llvm-project roc-6.4.0 25133 c7fe45cf4b819c5991fe208aaa96edf142730f1d)"
	.section	".note.GNU-stack","",@progbits
	.addrsig
	.addrsig_sym __hip_cuid_82b20aa6adefe5ae
	.amdgpu_metadata
---
amdhsa.kernels:
  - .args:
      - .actual_access:  read_only
        .address_space:  global
        .offset:         0
        .size:           8
        .value_kind:     global_buffer
      - .offset:         8
        .size:           8
        .value_kind:     by_value
      - .actual_access:  read_only
        .address_space:  global
        .offset:         16
        .size:           8
        .value_kind:     global_buffer
      - .actual_access:  read_only
        .address_space:  global
        .offset:         24
        .size:           8
        .value_kind:     global_buffer
      - .offset:         32
        .size:           8
        .value_kind:     by_value
      - .actual_access:  read_only
        .address_space:  global
        .offset:         40
        .size:           8
        .value_kind:     global_buffer
      - .actual_access:  read_only
        .address_space:  global
        .offset:         48
        .size:           8
        .value_kind:     global_buffer
      - .offset:         56
        .size:           4
        .value_kind:     by_value
      - .actual_access:  read_only
        .address_space:  global
        .offset:         64
        .size:           8
        .value_kind:     global_buffer
      - .actual_access:  read_only
        .address_space:  global
        .offset:         72
        .size:           8
        .value_kind:     global_buffer
      - .address_space:  global
        .offset:         80
        .size:           8
        .value_kind:     global_buffer
    .group_segment_fixed_size: 0
    .kernarg_segment_align: 8
    .kernarg_segment_size: 88
    .language:       OpenCL C
    .language_version:
      - 2
      - 0
    .max_flat_workgroup_size: 108
    .name:           fft_rtc_back_len1296_factors_6_6_6_6_wgs_108_tpt_108_halfLds_dp_ip_CI_unitstride_sbrr_C2R_dirReg
    .private_segment_fixed_size: 0
    .sgpr_count:     23
    .sgpr_spill_count: 0
    .symbol:         fft_rtc_back_len1296_factors_6_6_6_6_wgs_108_tpt_108_halfLds_dp_ip_CI_unitstride_sbrr_C2R_dirReg.kd
    .uniform_work_group_size: 1
    .uses_dynamic_stack: false
    .vgpr_count:     86
    .vgpr_spill_count: 0
    .wavefront_size: 32
    .workgroup_processor_mode: 1
amdhsa.target:   amdgcn-amd-amdhsa--gfx1030
amdhsa.version:
  - 1
  - 2
...

	.end_amdgpu_metadata
